;; amdgpu-corpus repo=ggml-org/llama.cpp kind=compiled arch=gfx1100 opt=O3
	.text
	.amdgcn_target "amdgcn-amd-amdhsa--gfx1100"
	.amdhsa_code_object_version 6
	.section	.text._ZL13add_id_kernelPKfS0_PKiPfllmmmm,"axG",@progbits,_ZL13add_id_kernelPKfS0_PKiPfllmmmm,comdat
	.globl	_ZL13add_id_kernelPKfS0_PKiPfllmmmm ; -- Begin function _ZL13add_id_kernelPKfS0_PKiPfllmmmm
	.p2align	8
	.type	_ZL13add_id_kernelPKfS0_PKiPfllmmmm,@function
_ZL13add_id_kernelPKfS0_PKiPfllmmmm:    ; @_ZL13add_id_kernelPKfS0_PKiPfllmmmm
; %bb.0:
	s_load_b512 s[16:31], s[0:1], 0x0
	v_mov_b32_e32 v1, 0
	s_mov_b32 s3, exec_lo
	s_waitcnt lgkmcnt(0)
	s_delay_alu instid0(VALU_DEP_1)
	v_cmpx_gt_i64_e64 s[24:25], v[0:1]
	s_cbranch_execz .LBB0_3
; %bb.1:
	s_load_b128 s[4:7], s[0:1], 0x40
	s_mov_b32 s2, s15
	s_mov_b32 s15, 0
	s_mul_hi_u32 s10, s2, s26
	s_lshl_b64 s[8:9], s[14:15], 2
	s_mul_i32 s11, s2, s26
	s_mul_i32 s12, s14, s29
	s_mul_hi_u32 s13, s14, s28
	s_mul_i32 s26, s14, s28
	s_mul_hi_u32 s28, s2, s30
	s_mul_i32 s29, s2, s30
	s_load_b32 s30, s[0:1], 0x5c
	s_add_u32 s0, s20, s8
	s_mul_i32 s3, s2, s27
	s_mul_i32 s27, s2, s31
	s_addc_u32 s1, s21, s9
	v_alignbit_b32 v2, s25, s24, 30
	s_waitcnt lgkmcnt(0)
	s_mul_i32 s7, s2, s7
	s_mul_hi_u32 s8, s2, s6
	s_mul_i32 s2, s2, s6
	s_add_i32 s8, s8, s7
	s_add_u32 s0, s0, s2
	s_addc_u32 s1, s1, s8
	v_mul_lo_u32 v3, v2, s14
	s_load_b32 s0, s[0:1], 0x0
	v_mul_lo_u32 v2, s11, v2
	s_lshl_b32 s1, s24, 2
	s_add_i32 s2, s10, s3
	s_mul_hi_u32 s3, s1, s14
	s_mul_hi_u32 s7, s11, s1
	s_mul_i32 s6, s1, s14
	v_add_nc_u32_e32 v3, s3, v3
	s_add_i32 s13, s13, s12
	v_add_nc_u32_e32 v2, s7, v2
	s_mul_i32 s2, s2, s1
	v_add_co_u32 v4, vcc_lo, s22, s6
	s_mul_i32 s11, s11, s1
	v_add_co_ci_u32_e32 v3, vcc_lo, s23, v3, vcc_lo
	v_add_nc_u32_e32 v5, s2, v2
	s_delay_alu instid0(VALU_DEP_3)
	v_add_co_u32 v2, vcc_lo, v4, s11
	v_lshlrev_b32_e32 v4, 2, v0
	s_waitcnt lgkmcnt(0)
	s_ashr_i32 s3, s0, 31
	s_add_u32 s1, s16, s26
	s_mul_i32 s5, s0, s5
	s_addc_u32 s2, s17, s13
	s_add_i32 s28, s28, s27
	s_mul_hi_u32 s6, s0, s4
	s_add_u32 s1, s1, s29
	s_addc_u32 s2, s2, s28
	s_add_i32 s5, s6, s5
	s_mul_i32 s3, s3, s4
	s_mul_i32 s0, s0, s4
	s_add_i32 s5, s5, s3
	v_add_co_ci_u32_e32 v3, vcc_lo, v3, v5, vcc_lo
	v_mov_b32_e32 v5, v1
	s_add_u32 s3, s18, s0
	s_addc_u32 s4, s19, s5
	s_and_b32 s5, s30, 0xffff
	s_delay_alu instid0(SALU_CYCLE_1)
	s_lshl_b32 s6, s5, 2
	.p2align	6
.LBB0_2:                                ; =>This Inner Loop Header: Depth=1
	v_add_co_u32 v6, vcc_lo, s1, v4
	v_add_co_ci_u32_e32 v7, vcc_lo, s2, v5, vcc_lo
	v_add_co_u32 v8, vcc_lo, s3, v4
	v_add_co_ci_u32_e32 v9, vcc_lo, s4, v5, vcc_lo
	v_add_co_u32 v0, vcc_lo, v0, s5
	global_load_b32 v10, v[6:7], off
	global_load_b32 v8, v[8:9], off
	v_add_co_ci_u32_e32 v1, vcc_lo, 0, v1, vcc_lo
	v_add_co_u32 v6, vcc_lo, v2, v4
	v_add_co_ci_u32_e32 v7, vcc_lo, v3, v5, vcc_lo
	s_delay_alu instid0(VALU_DEP_3) | instskip(SKIP_1) | instid1(VALU_DEP_1)
	v_cmp_le_i64_e32 vcc_lo, s[24:25], v[0:1]
	v_add_co_u32 v4, s0, v4, s6
	v_add_co_ci_u32_e64 v5, s0, 0, v5, s0
	s_or_b32 s15, vcc_lo, s15
	s_waitcnt vmcnt(0)
	v_add_f32_e32 v8, v10, v8
	global_store_b32 v[6:7], v8, off
	s_and_not1_b32 exec_lo, exec_lo, s15
	s_cbranch_execnz .LBB0_2
.LBB0_3:
	s_nop 0
	s_sendmsg sendmsg(MSG_DEALLOC_VGPRS)
	s_endpgm
	.section	.rodata,"a",@progbits
	.p2align	6, 0x0
	.amdhsa_kernel _ZL13add_id_kernelPKfS0_PKiPfllmmmm
		.amdhsa_group_segment_fixed_size 0
		.amdhsa_private_segment_fixed_size 0
		.amdhsa_kernarg_size 336
		.amdhsa_user_sgpr_count 14
		.amdhsa_user_sgpr_dispatch_ptr 0
		.amdhsa_user_sgpr_queue_ptr 0
		.amdhsa_user_sgpr_kernarg_segment_ptr 1
		.amdhsa_user_sgpr_dispatch_id 0
		.amdhsa_user_sgpr_private_segment_size 0
		.amdhsa_wavefront_size32 1
		.amdhsa_uses_dynamic_stack 0
		.amdhsa_enable_private_segment 0
		.amdhsa_system_sgpr_workgroup_id_x 1
		.amdhsa_system_sgpr_workgroup_id_y 1
		.amdhsa_system_sgpr_workgroup_id_z 0
		.amdhsa_system_sgpr_workgroup_info 0
		.amdhsa_system_vgpr_workitem_id 0
		.amdhsa_next_free_vgpr 11
		.amdhsa_next_free_sgpr 32
		.amdhsa_reserve_vcc 1
		.amdhsa_float_round_mode_32 0
		.amdhsa_float_round_mode_16_64 0
		.amdhsa_float_denorm_mode_32 3
		.amdhsa_float_denorm_mode_16_64 3
		.amdhsa_dx10_clamp 1
		.amdhsa_ieee_mode 1
		.amdhsa_fp16_overflow 0
		.amdhsa_workgroup_processor_mode 1
		.amdhsa_memory_ordered 1
		.amdhsa_forward_progress 0
		.amdhsa_shared_vgpr_count 0
		.amdhsa_exception_fp_ieee_invalid_op 0
		.amdhsa_exception_fp_denorm_src 0
		.amdhsa_exception_fp_ieee_div_zero 0
		.amdhsa_exception_fp_ieee_overflow 0
		.amdhsa_exception_fp_ieee_underflow 0
		.amdhsa_exception_fp_ieee_inexact 0
		.amdhsa_exception_int_div_zero 0
	.end_amdhsa_kernel
	.section	.text._ZL13add_id_kernelPKfS0_PKiPfllmmmm,"axG",@progbits,_ZL13add_id_kernelPKfS0_PKiPfllmmmm,comdat
.Lfunc_end0:
	.size	_ZL13add_id_kernelPKfS0_PKiPfllmmmm, .Lfunc_end0-_ZL13add_id_kernelPKfS0_PKiPfllmmmm
                                        ; -- End function
	.section	.AMDGPU.csdata,"",@progbits
; Kernel info:
; codeLenInByte = 452
; NumSgprs: 34
; NumVgprs: 11
; ScratchSize: 0
; MemoryBound: 0
; FloatMode: 240
; IeeeMode: 1
; LDSByteSize: 0 bytes/workgroup (compile time only)
; SGPRBlocks: 4
; VGPRBlocks: 1
; NumSGPRsForWavesPerEU: 34
; NumVGPRsForWavesPerEU: 11
; Occupancy: 16
; WaveLimiterHint : 1
; COMPUTE_PGM_RSRC2:SCRATCH_EN: 0
; COMPUTE_PGM_RSRC2:USER_SGPR: 14
; COMPUTE_PGM_RSRC2:TRAP_HANDLER: 0
; COMPUTE_PGM_RSRC2:TGID_X_EN: 1
; COMPUTE_PGM_RSRC2:TGID_Y_EN: 1
; COMPUTE_PGM_RSRC2:TGID_Z_EN: 0
; COMPUTE_PGM_RSRC2:TIDIG_COMP_CNT: 0
	.text
	.p2alignl 7, 3214868480
	.fill 96, 4, 3214868480
	.type	__hip_cuid_55753437f991561a,@object ; @__hip_cuid_55753437f991561a
	.section	.bss,"aw",@nobits
	.globl	__hip_cuid_55753437f991561a
__hip_cuid_55753437f991561a:
	.byte	0                               ; 0x0
	.size	__hip_cuid_55753437f991561a, 1

	.ident	"AMD clang version 19.0.0git (https://github.com/RadeonOpenCompute/llvm-project roc-6.4.0 25133 c7fe45cf4b819c5991fe208aaa96edf142730f1d)"
	.section	".note.GNU-stack","",@progbits
	.addrsig
	.addrsig_sym __hip_cuid_55753437f991561a
	.amdgpu_metadata
---
amdhsa.kernels:
  - .args:
      - .address_space:  global
        .offset:         0
        .size:           8
        .value_kind:     global_buffer
      - .address_space:  global
        .offset:         8
        .size:           8
        .value_kind:     global_buffer
      - .address_space:  global
        .offset:         16
        .size:           8
        .value_kind:     global_buffer
      - .address_space:  global
        .offset:         24
        .size:           8
        .value_kind:     global_buffer
      - .offset:         32
        .size:           8
        .value_kind:     by_value
      - .offset:         40
        .size:           8
        .value_kind:     by_value
      - .offset:         48
        .size:           8
        .value_kind:     by_value
      - .offset:         56
        .size:           8
        .value_kind:     by_value
      - .offset:         64
        .size:           8
        .value_kind:     by_value
      - .offset:         72
        .size:           8
        .value_kind:     by_value
      - .offset:         80
        .size:           4
        .value_kind:     hidden_block_count_x
      - .offset:         84
        .size:           4
        .value_kind:     hidden_block_count_y
      - .offset:         88
        .size:           4
        .value_kind:     hidden_block_count_z
      - .offset:         92
        .size:           2
        .value_kind:     hidden_group_size_x
      - .offset:         94
        .size:           2
        .value_kind:     hidden_group_size_y
      - .offset:         96
        .size:           2
        .value_kind:     hidden_group_size_z
      - .offset:         98
        .size:           2
        .value_kind:     hidden_remainder_x
      - .offset:         100
        .size:           2
        .value_kind:     hidden_remainder_y
      - .offset:         102
        .size:           2
        .value_kind:     hidden_remainder_z
      - .offset:         120
        .size:           8
        .value_kind:     hidden_global_offset_x
      - .offset:         128
        .size:           8
        .value_kind:     hidden_global_offset_y
      - .offset:         136
        .size:           8
        .value_kind:     hidden_global_offset_z
      - .offset:         144
        .size:           2
        .value_kind:     hidden_grid_dims
    .group_segment_fixed_size: 0
    .kernarg_segment_align: 8
    .kernarg_segment_size: 336
    .language:       OpenCL C
    .language_version:
      - 2
      - 0
    .max_flat_workgroup_size: 1024
    .name:           _ZL13add_id_kernelPKfS0_PKiPfllmmmm
    .private_segment_fixed_size: 0
    .sgpr_count:     34
    .sgpr_spill_count: 0
    .symbol:         _ZL13add_id_kernelPKfS0_PKiPfllmmmm.kd
    .uniform_work_group_size: 1
    .uses_dynamic_stack: false
    .vgpr_count:     11
    .vgpr_spill_count: 0
    .wavefront_size: 32
    .workgroup_processor_mode: 1
amdhsa.target:   amdgcn-amd-amdhsa--gfx1100
amdhsa.version:
  - 1
  - 2
...

	.end_amdgpu_metadata
